;; amdgpu-corpus repo=ROCm/rocFFT kind=compiled arch=gfx950 opt=O3
	.text
	.amdgcn_target "amdgcn-amd-amdhsa--gfx950"
	.amdhsa_code_object_version 6
	.protected	fft_rtc_back_len810_factors_3_10_3_3_3_wgs_81_tpt_81_halfLds_sp_ip_CI_unitstride_sbrr_dirReg ; -- Begin function fft_rtc_back_len810_factors_3_10_3_3_3_wgs_81_tpt_81_halfLds_sp_ip_CI_unitstride_sbrr_dirReg
	.globl	fft_rtc_back_len810_factors_3_10_3_3_3_wgs_81_tpt_81_halfLds_sp_ip_CI_unitstride_sbrr_dirReg
	.p2align	8
	.type	fft_rtc_back_len810_factors_3_10_3_3_3_wgs_81_tpt_81_halfLds_sp_ip_CI_unitstride_sbrr_dirReg,@function
fft_rtc_back_len810_factors_3_10_3_3_3_wgs_81_tpt_81_halfLds_sp_ip_CI_unitstride_sbrr_dirReg: ; @fft_rtc_back_len810_factors_3_10_3_3_3_wgs_81_tpt_81_halfLds_sp_ip_CI_unitstride_sbrr_dirReg
; %bb.0:
	s_load_dwordx2 s[4:5], s[0:1], 0x50
	s_load_dwordx4 s[8:11], s[0:1], 0x0
	s_load_dwordx2 s[6:7], s[0:1], 0x18
	v_mul_u32_u24_e32 v1, 0x32a, v0
	v_add_u32_sdwa v6, s2, v1 dst_sel:DWORD dst_unused:UNUSED_PAD src0_sel:DWORD src1_sel:WORD_1
	v_mov_b32_e32 v4, 0
	s_waitcnt lgkmcnt(0)
	v_cmp_lt_u64_e64 s[2:3], s[10:11], 2
	v_mov_b32_e32 v7, v4
	s_and_b64 vcc, exec, s[2:3]
	v_mov_b64_e32 v[2:3], 0
	s_cbranch_vccnz .LBB0_8
; %bb.1:
	s_load_dwordx2 s[2:3], s[0:1], 0x10
	s_add_u32 s12, s6, 8
	s_addc_u32 s13, s7, 0
	s_mov_b64 s[14:15], 1
	v_mov_b64_e32 v[2:3], 0
	s_waitcnt lgkmcnt(0)
	s_add_u32 s16, s2, 8
	s_addc_u32 s17, s3, 0
.LBB0_2:                                ; =>This Inner Loop Header: Depth=1
	s_load_dwordx2 s[18:19], s[16:17], 0x0
                                        ; implicit-def: $vgpr8_vgpr9
	s_waitcnt lgkmcnt(0)
	v_or_b32_e32 v5, s19, v7
	v_cmp_ne_u64_e32 vcc, 0, v[4:5]
	s_and_saveexec_b64 s[2:3], vcc
	s_xor_b64 s[20:21], exec, s[2:3]
	s_cbranch_execz .LBB0_4
; %bb.3:                                ;   in Loop: Header=BB0_2 Depth=1
	v_cvt_f32_u32_e32 v1, s18
	v_cvt_f32_u32_e32 v5, s19
	s_sub_u32 s2, 0, s18
	s_subb_u32 s3, 0, s19
	v_fmac_f32_e32 v1, 0x4f800000, v5
	v_rcp_f32_e32 v1, v1
	s_nop 0
	v_mul_f32_e32 v1, 0x5f7ffffc, v1
	v_mul_f32_e32 v5, 0x2f800000, v1
	v_trunc_f32_e32 v5, v5
	v_fmac_f32_e32 v1, 0xcf800000, v5
	v_cvt_u32_f32_e32 v5, v5
	v_cvt_u32_f32_e32 v1, v1
	v_mul_lo_u32 v8, s2, v5
	v_mul_hi_u32 v10, s2, v1
	v_mul_lo_u32 v9, s3, v1
	v_add_u32_e32 v10, v10, v8
	v_mul_lo_u32 v12, s2, v1
	v_add_u32_e32 v13, v10, v9
	v_mul_hi_u32 v8, v1, v12
	v_mul_hi_u32 v11, v1, v13
	v_mul_lo_u32 v10, v1, v13
	v_mov_b32_e32 v9, v4
	v_lshl_add_u64 v[8:9], v[8:9], 0, v[10:11]
	v_mul_hi_u32 v11, v5, v12
	v_mul_lo_u32 v12, v5, v12
	v_add_co_u32_e32 v8, vcc, v8, v12
	v_mul_hi_u32 v10, v5, v13
	s_nop 0
	v_addc_co_u32_e32 v8, vcc, v9, v11, vcc
	v_mov_b32_e32 v9, v4
	s_nop 0
	v_addc_co_u32_e32 v11, vcc, 0, v10, vcc
	v_mul_lo_u32 v10, v5, v13
	v_lshl_add_u64 v[8:9], v[8:9], 0, v[10:11]
	v_add_co_u32_e32 v1, vcc, v1, v8
	v_mul_lo_u32 v10, s2, v1
	s_nop 0
	v_addc_co_u32_e32 v5, vcc, v5, v9, vcc
	v_mul_lo_u32 v8, s2, v5
	v_mul_hi_u32 v9, s2, v1
	v_add_u32_e32 v8, v9, v8
	v_mul_lo_u32 v9, s3, v1
	v_add_u32_e32 v12, v8, v9
	v_mul_hi_u32 v14, v5, v10
	v_mul_lo_u32 v15, v5, v10
	v_mul_hi_u32 v9, v1, v12
	v_mul_lo_u32 v8, v1, v12
	v_mul_hi_u32 v10, v1, v10
	v_mov_b32_e32 v11, v4
	v_lshl_add_u64 v[8:9], v[10:11], 0, v[8:9]
	v_add_co_u32_e32 v8, vcc, v8, v15
	v_mul_hi_u32 v13, v5, v12
	s_nop 0
	v_addc_co_u32_e32 v8, vcc, v9, v14, vcc
	v_mul_lo_u32 v10, v5, v12
	s_nop 0
	v_addc_co_u32_e32 v11, vcc, 0, v13, vcc
	v_mov_b32_e32 v9, v4
	v_lshl_add_u64 v[8:9], v[8:9], 0, v[10:11]
	v_add_co_u32_e32 v1, vcc, v1, v8
	v_mul_hi_u32 v10, v6, v1
	s_nop 0
	v_addc_co_u32_e32 v5, vcc, v5, v9, vcc
	v_mad_u64_u32 v[8:9], s[2:3], v6, v5, 0
	v_mov_b32_e32 v11, v4
	v_lshl_add_u64 v[8:9], v[10:11], 0, v[8:9]
	v_mad_u64_u32 v[12:13], s[2:3], v7, v1, 0
	v_add_co_u32_e32 v1, vcc, v8, v12
	v_mad_u64_u32 v[10:11], s[2:3], v7, v5, 0
	s_nop 0
	v_addc_co_u32_e32 v8, vcc, v9, v13, vcc
	v_mov_b32_e32 v9, v4
	s_nop 0
	v_addc_co_u32_e32 v11, vcc, 0, v11, vcc
	v_lshl_add_u64 v[8:9], v[8:9], 0, v[10:11]
	v_mul_lo_u32 v1, s19, v8
	v_mul_lo_u32 v5, s18, v9
	v_mad_u64_u32 v[10:11], s[2:3], s18, v8, 0
	v_add3_u32 v1, v11, v5, v1
	v_sub_u32_e32 v5, v7, v1
	v_mov_b32_e32 v11, s19
	v_sub_co_u32_e32 v14, vcc, v6, v10
	v_lshl_add_u64 v[12:13], v[8:9], 0, 1
	s_nop 0
	v_subb_co_u32_e64 v5, s[2:3], v5, v11, vcc
	v_subrev_co_u32_e64 v10, s[2:3], s18, v14
	v_subb_co_u32_e32 v1, vcc, v7, v1, vcc
	s_nop 0
	v_subbrev_co_u32_e64 v5, s[2:3], 0, v5, s[2:3]
	v_cmp_le_u32_e64 s[2:3], s19, v5
	v_cmp_le_u32_e32 vcc, s19, v1
	s_nop 0
	v_cndmask_b32_e64 v11, 0, -1, s[2:3]
	v_cmp_le_u32_e64 s[2:3], s18, v10
	s_nop 1
	v_cndmask_b32_e64 v10, 0, -1, s[2:3]
	v_cmp_eq_u32_e64 s[2:3], s19, v5
	s_nop 1
	v_cndmask_b32_e64 v5, v11, v10, s[2:3]
	v_lshl_add_u64 v[10:11], v[8:9], 0, 2
	v_cmp_ne_u32_e64 s[2:3], 0, v5
	s_nop 1
	v_cndmask_b32_e64 v5, v13, v11, s[2:3]
	v_cndmask_b32_e64 v11, 0, -1, vcc
	v_cmp_le_u32_e32 vcc, s18, v14
	s_nop 1
	v_cndmask_b32_e64 v13, 0, -1, vcc
	v_cmp_eq_u32_e32 vcc, s19, v1
	s_nop 1
	v_cndmask_b32_e32 v1, v11, v13, vcc
	v_cmp_ne_u32_e32 vcc, 0, v1
	v_cndmask_b32_e64 v1, v12, v10, s[2:3]
	s_nop 0
	v_cndmask_b32_e32 v9, v9, v5, vcc
	v_cndmask_b32_e32 v8, v8, v1, vcc
.LBB0_4:                                ;   in Loop: Header=BB0_2 Depth=1
	s_andn2_saveexec_b64 s[2:3], s[20:21]
	s_cbranch_execz .LBB0_6
; %bb.5:                                ;   in Loop: Header=BB0_2 Depth=1
	v_cvt_f32_u32_e32 v1, s18
	s_sub_i32 s20, 0, s18
	v_rcp_iflag_f32_e32 v1, v1
	s_nop 0
	v_mul_f32_e32 v1, 0x4f7ffffe, v1
	v_cvt_u32_f32_e32 v1, v1
	v_mul_lo_u32 v5, s20, v1
	v_mul_hi_u32 v5, v1, v5
	v_add_u32_e32 v1, v1, v5
	v_mul_hi_u32 v1, v6, v1
	v_mul_lo_u32 v5, v1, s18
	v_sub_u32_e32 v5, v6, v5
	v_add_u32_e32 v8, 1, v1
	v_subrev_u32_e32 v9, s18, v5
	v_cmp_le_u32_e32 vcc, s18, v5
	s_nop 1
	v_cndmask_b32_e32 v5, v5, v9, vcc
	v_cndmask_b32_e32 v1, v1, v8, vcc
	v_add_u32_e32 v8, 1, v1
	v_cmp_le_u32_e32 vcc, s18, v5
	v_mov_b32_e32 v9, v4
	s_nop 0
	v_cndmask_b32_e32 v8, v1, v8, vcc
.LBB0_6:                                ;   in Loop: Header=BB0_2 Depth=1
	s_or_b64 exec, exec, s[2:3]
	v_mad_u64_u32 v[10:11], s[2:3], v8, s18, 0
	s_load_dwordx2 s[2:3], s[12:13], 0x0
	v_mul_lo_u32 v1, v9, s18
	v_mul_lo_u32 v5, v8, s19
	v_add3_u32 v1, v11, v5, v1
	v_sub_co_u32_e32 v5, vcc, v6, v10
	s_add_u32 s14, s14, 1
	s_nop 0
	v_subb_co_u32_e32 v1, vcc, v7, v1, vcc
	s_addc_u32 s15, s15, 0
	s_waitcnt lgkmcnt(0)
	v_mul_lo_u32 v1, s2, v1
	v_mul_lo_u32 v6, s3, v5
	v_mad_u64_u32 v[2:3], s[2:3], s2, v5, v[2:3]
	s_add_u32 s12, s12, 8
	v_add3_u32 v3, v6, v3, v1
	s_addc_u32 s13, s13, 0
	v_mov_b64_e32 v[6:7], s[10:11]
	s_add_u32 s16, s16, 8
	v_cmp_ge_u64_e32 vcc, s[14:15], v[6:7]
	s_addc_u32 s17, s17, 0
	s_cbranch_vccnz .LBB0_9
; %bb.7:                                ;   in Loop: Header=BB0_2 Depth=1
	v_mov_b64_e32 v[6:7], v[8:9]
	s_branch .LBB0_2
.LBB0_8:
	v_mov_b64_e32 v[8:9], v[6:7]
.LBB0_9:
	s_lshl_b64 s[2:3], s[10:11], 3
	s_add_u32 s2, s6, s2
	s_addc_u32 s3, s7, s3
	s_load_dwordx2 s[6:7], s[2:3], 0x0
	s_load_dwordx2 s[10:11], s[0:1], 0x20
	s_mov_b32 s2, 0x3291620
                                        ; implicit-def: $vgpr12
                                        ; implicit-def: $vgpr10
                                        ; implicit-def: $vgpr14
                                        ; implicit-def: $vgpr22
                                        ; implicit-def: $vgpr16
                                        ; implicit-def: $vgpr28
                                        ; implicit-def: $vgpr30
                                        ; implicit-def: $vgpr26
                                        ; implicit-def: $vgpr18
                                        ; implicit-def: $vgpr24
                                        ; implicit-def: $vgpr20
	s_waitcnt lgkmcnt(0)
	v_mul_lo_u32 v1, s6, v9
	v_mul_lo_u32 v4, s7, v8
	v_mad_u64_u32 v[2:3], s[0:1], s6, v8, v[2:3]
	v_add3_u32 v3, v4, v3, v1
	v_mul_hi_u32 v1, v0, s2
	v_mul_u32_u24_e32 v1, 0x51, v1
	v_cmp_gt_u64_e64 s[0:1], s[10:11], v[8:9]
	v_sub_u32_e32 v0, v0, v1
	v_lshl_add_u64 v[2:3], v[2:3], 3, s[4:5]
                                        ; implicit-def: $vgpr8
	s_and_saveexec_b64 s[2:3], s[0:1]
	s_cbranch_execz .LBB0_13
; %bb.10:
	v_mov_b32_e32 v1, 0
	v_lshl_add_u64 v[4:5], v[0:1], 3, v[2:3]
	v_add_co_u32_e32 v6, vcc, 0x1000, v4
                                        ; implicit-def: $vgpr21
                                        ; implicit-def: $vgpr25
                                        ; implicit-def: $vgpr19
	s_nop 1
	v_addc_co_u32_e32 v7, vcc, 0, v5, vcc
	global_load_dwordx2 v[26:27], v[4:5], off
	global_load_dwordx2 v[16:17], v[4:5], off offset:648
	global_load_dwordx2 v[22:23], v[4:5], off offset:2808
	;; [unrolled: 1-line block ×8, first 2 shown]
	v_cmp_gt_u32_e32 vcc, 27, v0
	s_and_saveexec_b64 s[4:5], vcc
	s_cbranch_execz .LBB0_12
; %bb.11:
	v_add_co_u32_e32 v6, vcc, 0x1000, v4
	s_nop 1
	v_addc_co_u32_e32 v7, vcc, 0, v5, vcc
	global_load_dwordx2 v[20:21], v[4:5], off offset:1944
	global_load_dwordx2 v[24:25], v[6:7], off offset:8
	;; [unrolled: 1-line block ×3, first 2 shown]
.LBB0_12:
	s_or_b64 exec, exec, s[4:5]
.LBB0_13:
	s_or_b64 exec, exec, s[2:3]
	s_waitcnt vmcnt(2)
	v_pk_add_f32 v[46:47], v[28:29], v[30:31]
	v_pk_add_f32 v[44:45], v[14:15], v[22:23]
	v_mul_f32_e32 v5, 0.5, v46
	v_pk_add_f32 v[42:43], v[30:31], v[28:29] neg_lo:[0,1] neg_hi:[0,1]
	v_mul_f32_e32 v49, 0.5, v44
	v_pk_add_f32 v[38:39], v[22:23], v[14:15] neg_lo:[0,1] neg_hi:[0,1]
	s_waitcnt vmcnt(0)
	v_pk_add_f32 v[40:41], v[8:9], v[12:13]
	v_mov_b32_e32 v4, v30
	v_pk_add_f32 v[56:57], v[26:27], v[30:31]
	v_mov_b32_e32 v48, v22
	v_mul_f32_e32 v7, 0x3f5db3d7, v43
	v_mul_f32_e32 v51, 0x3f5db3d7, v39
	v_mul_f32_e32 v53, 0.5, v40
	v_pk_add_f32 v[36:37], v[18:19], v[24:25]
	v_mov_b32_e32 v40, v20
	v_pk_add_f32 v[58:59], v[26:27], v[4:5] op_sel_hi:[0,1] neg_lo:[0,1] neg_hi:[0,1]
	v_mov_b32_e32 v6, v28
	v_pk_add_f32 v[4:5], v[56:57], v[28:29]
	v_pk_add_f32 v[56:57], v[16:17], v[22:23]
	v_pk_add_f32 v[48:49], v[16:17], v[48:49] op_sel_hi:[0,1] neg_lo:[0,1] neg_hi:[0,1]
	v_mov_b32_e32 v50, v14
	v_pk_add_f32 v[34:35], v[12:13], v[8:9] neg_lo:[0,1] neg_hi:[0,1]
	v_fmac_f32_e32 v40, -0.5, v36
	v_pk_add_f32 v[32:33], v[24:25], v[18:19] neg_lo:[0,1] neg_hi:[0,1]
	v_mad_u32_u24 v36, v0, 12, 0
	v_pk_add_f32 v[6:7], v[58:59], v[6:7] neg_lo:[0,1] neg_hi:[0,1]
	v_pk_add_f32 v[56:57], v[56:57], v[14:15]
	v_pk_add_f32 v[50:51], v[48:49], v[50:51] neg_lo:[0,1] neg_hi:[0,1]
	v_fmac_f32_e32 v49, 0x3f5db3d7, v39
	v_mov_b32_e32 v52, v12
	v_mul_f32_e32 v55, 0x3f5db3d7, v35
	ds_write2_b32 v36, v4, v7 offset1:1
	v_mul_f32_e32 v6, 0x3f5db3d7, v33
	v_fmac_f32_e32 v59, 0x3f5db3d7, v43
	ds_write2_b32 v36, v56, v51 offset0:243 offset1:244
	ds_write2_b32 v36, v59, v49 offset0:2 offset1:245
	v_pk_add_f32 v[48:49], v[10:11], v[12:13]
	v_pk_add_f32 v[50:51], v[10:11], v[52:53] op_sel_hi:[0,1] neg_lo:[0,1] neg_hi:[0,1]
	v_mov_b32_e32 v54, v8
	v_pk_add_f32 v[4:5], v[40:41], v[6:7] op_sel_hi:[0,0] neg_lo:[0,1] neg_hi:[0,1]
	v_pk_add_f32 v[6:7], v[40:41], v[6:7] op_sel_hi:[0,0]
	v_add_u32_e32 v28, 0x798, v36
	v_pk_add_f32 v[48:49], v[48:49], v[8:9]
	v_pk_add_f32 v[52:53], v[50:51], v[54:55] neg_lo:[0,1] neg_hi:[0,1]
	v_cmp_lt_u32_e32 vcc, 26, v0
	v_cmp_gt_u32_e64 s[2:3], 27, v0
	v_fmac_f32_e32 v51, 0x3f5db3d7, v35
	ds_write2_b32 v28, v48, v53 offset1:1
	ds_write_b32 v36, v51 offset:1952
	s_and_saveexec_b64 s[4:5], s[2:3]
	s_cbranch_execz .LBB0_15
; %bb.14:
	v_add_f32_e32 v1, v24, v20
	v_add_f32_e32 v1, v18, v1
	v_add_u32_e32 v5, 0xb68, v36
	ds_write_b32 v36, v1 offset:2916
	v_mov_b32_e32 v1, v7
	ds_write2_b32 v5, v4, v7 offset1:1
.LBB0_15:
	s_or_b64 exec, exec, s[4:5]
	v_mul_f32_e32 v47, 0.5, v47
	v_mov_b32_e32 v46, v31
	v_pk_add_f32 v[30:31], v[26:27], v[46:47] op_sel:[1,0]
	v_pk_add_f32 v[26:27], v[26:27], v[46:47] op_sel:[1,0] neg_lo:[0,1] neg_hi:[0,1]
	v_mul_f32_e32 v47, 0x3f5db3d7, v42
	v_mov_b32_e32 v31, v27
	v_fmac_f32_e32 v27, 0xbf5db3d7, v42
	v_mul_f32_e32 v43, 0.5, v45
	v_mov_b32_e32 v42, v23
	v_pk_add_f32 v[22:23], v[16:17], v[42:43] op_sel:[1,0]
	v_pk_add_f32 v[42:43], v[16:17], v[42:43] op_sel:[1,0] neg_lo:[0,1] neg_hi:[0,1]
	v_mov_b32_e32 v16, v15
	v_mul_f32_e32 v15, 0.5, v41
	v_mov_b32_e32 v14, v13
	v_mov_b32_e32 v23, v43
	v_mul_f32_e32 v17, 0x3f5db3d7, v38
	v_fmac_f32_e32 v43, 0xbf5db3d7, v38
	v_pk_add_f32 v[12:13], v[10:11], v[14:15] op_sel:[1,0]
	v_pk_add_f32 v[38:39], v[10:11], v[14:15] op_sel:[1,0] neg_lo:[0,1] neg_hi:[0,1]
	v_mul_f32_e32 v11, 0x3f5db3d7, v34
	v_mov_b32_e32 v13, v39
	v_mov_b32_e32 v10, v9
	v_mul_f32_e32 v9, 0.5, v37
	v_mov_b32_e32 v8, v25
	v_lshlrev_b32_e32 v1, 3, v0
	v_pk_add_f32 v[12:13], v[10:11], v[12:13]
	v_pk_add_f32 v[10:11], v[20:21], v[8:9] op_sel:[1,0]
	v_pk_add_f32 v[8:9], v[20:21], v[8:9] op_sel:[1,0] neg_lo:[0,1] neg_hi:[0,1]
	v_sub_u32_e32 v1, v36, v1
	v_mov_b32_e32 v11, v9
	v_mul_f32_e32 v15, 0x3f5db3d7, v32
	v_mov_b32_e32 v14, v19
	v_add_u32_e32 v5, 0x400, v1
	v_add_u32_e32 v8, 0x600, v1
	;; [unrolled: 1-line block ×3, first 2 shown]
	v_pk_add_f32 v[44:45], v[16:17], v[22:23]
	v_pk_add_f32 v[10:11], v[14:15], v[10:11]
	s_waitcnt lgkmcnt(0)
	s_barrier
	ds_read2_b32 v[14:15], v1 offset1:81
	ds_read2_b32 v[16:17], v1 offset0:162 offset1:243
	ds_read2_b32 v[20:21], v5 offset0:68 offset1:149
	;; [unrolled: 1-line block ×4, first 2 shown]
	v_mov_b32_e32 v46, v29
	v_pk_add_f32 v[30:31], v[46:47], v[30:31]
	v_fmac_f32_e32 v9, 0xbf5db3d7, v32
	v_fmac_f32_e32 v39, 0xbf5db3d7, v34
	s_waitcnt lgkmcnt(0)
	s_barrier
	ds_write2_b32 v36, v30, v31 offset1:1
	ds_write2_b32 v36, v44, v45 offset0:243 offset1:244
	ds_write2_b32 v36, v27, v43 offset0:2 offset1:245
	ds_write2_b32 v28, v12, v13 offset1:1
	ds_write_b32 v36, v39 offset:1952
	s_and_saveexec_b64 s[4:5], s[2:3]
	s_cbranch_execz .LBB0_17
; %bb.16:
	v_add_u32_e32 v12, 0xb64, v36
	ds_write2_b32 v12, v10, v11 offset1:1
	ds_write_b32 v36, v9 offset:2924
.LBB0_17:
	s_or_b64 exec, exec, s[4:5]
	s_movk_i32 s4, 0xab
	v_mul_lo_u16_sdwa v10, v0, s4 dst_sel:DWORD dst_unused:UNUSED_PAD src0_sel:BYTE_0 src1_sel:DWORD
	v_lshrrev_b16_e32 v62, 9, v10
	v_mul_lo_u16_e32 v10, 3, v62
	v_sub_u16_e32 v63, v0, v10
	v_mov_b32_e32 v10, 9
	v_mul_u32_u24_sdwa v10, v63, v10 dst_sel:DWORD dst_unused:UNUSED_PAD src0_sel:BYTE_0 src1_sel:DWORD
	v_lshlrev_b32_e32 v10, 3, v10
	s_waitcnt lgkmcnt(0)
	s_barrier
	global_load_dwordx4 v[24:27], v10, s[8:9] offset:16
	global_load_dwordx4 v[32:35], v10, s[8:9] offset:32
	global_load_dwordx4 v[36:39], v10, s[8:9] offset:48
	global_load_dwordx4 v[40:43], v10, s[8:9]
	global_load_dwordx2 v[28:29], v10, s[8:9] offset:64
	ds_read2_b32 v[12:13], v1 offset1:81
	ds_read2_b32 v[30:31], v1 offset0:162 offset1:243
	ds_read2_b32 v[44:45], v5 offset0:68 offset1:149
	;; [unrolled: 1-line block ×4, first 2 shown]
	v_mov_b32_e32 v53, v21
	v_mov_b32_e32 v55, v23
	s_waitcnt lgkmcnt(2)
	v_mov_b32_e32 v52, v44
	s_waitcnt lgkmcnt(1)
	v_mov_b32_e32 v54, v46
	s_mov_b32 s6, 0.5
	s_mov_b32 s7, 0x3f167918
	v_mov_b32_e32 v57, 0x3e9e377a
	s_mov_b32 s4, 0x3f737871
	s_mov_b32 s5, 0x3e9e377a
	;; [unrolled: 1-line block ×4, first 2 shown]
	s_waitcnt lgkmcnt(0)
	s_barrier
	s_waitcnt vmcnt(4)
	v_mov_b32_e32 v58, v27
	v_mul_f32_e32 v8, v31, v25
	v_mul_f32_e32 v10, v17, v25
	s_waitcnt vmcnt(3)
	v_mul_f32_e32 v48, v21, v33
	v_mul_f32_e32 v25, v20, v27
	v_mov_b32_e32 v21, v45
	v_mov_b32_e32 v27, v33
	;; [unrolled: 1-line block ×4, first 2 shown]
	v_fmac_f32_e32 v8, v17, v24
	v_fma_f32 v31, v31, v24, -v10
	v_fma_f32 v10, v44, v26, -v25
	v_pk_mul_f32 v[24:25], v[20:21], v[26:27]
	s_waitcnt vmcnt(1)
	v_mul_f32_e32 v27, v13, v41
	v_mul_f32_e32 v17, v15, v41
	;; [unrolled: 1-line block ×3, first 2 shown]
	v_fma_f32 v21, v45, v32, -v48
	v_mul_f32_e32 v32, v22, v35
	v_mov_b32_e32 v23, v47
	v_mov_b32_e32 v35, v37
	;; [unrolled: 1-line block ×3, first 2 shown]
	v_fma_f32 v48, v46, v34, -v32
	v_pk_mul_f32 v[32:33], v[22:23], v[34:35]
	s_waitcnt vmcnt(0)
	v_mul_f32_e32 v22, v19, v29
	v_mul_f32_e32 v64, v51, v29
	;; [unrolled: 1-line block ×3, first 2 shown]
	v_fma_f32 v23, v51, v28, -v22
	v_fmac_f32_e32 v64, v19, v28
	v_mul_f32_e32 v28, v18, v39
	v_pk_fma_f32 v[18:19], v[52:53], v[58:59], v[24:25]
	v_pk_fma_f32 v[24:25], v[54:55], v[60:61], v[32:33]
	v_mul_f32_e32 v46, v50, v39
	v_mul_f32_e32 v22, v50, v38
	v_fmac_f32_e32 v27, v15, v40
	v_fma_f32 v49, v13, v40, -v17
	v_add_f32_e32 v13, v8, v64
	v_pk_add_f32 v[50:51], v[18:19], v[24:25]
	v_mul_f32_e32 v26, v30, v43
	v_mul_f32_e32 v20, v16, v43
	v_mov_b32_e32 v43, 0x3f737871
	v_add_f32_e32 v65, v27, v8
	v_sub_f32_e32 v17, v31, v23
	v_fma_f32 v13, -0.5, v13, v27
	v_fmac_f32_e32 v27, -0.5, v51
	v_mul_f32_e32 v30, v30, v42
	v_add_f32_e32 v15, v31, v23
	v_pk_mul_f32 v[52:53], v[16:17], v[42:43]
	v_pk_fma_f32 v[42:43], v[16:17], v[42:43], v[26:27]
	v_fma_f32 v29, v47, v36, -v41
	v_pk_add_f32 v[32:33], v[30:31], v[20:21] neg_lo:[0,1] neg_hi:[0,1]
	v_fma_f32 v20, -0.5, v15, v49
	v_add_f32_e32 v15, v14, v42
	v_add_f32_e32 v36, v21, v29
	v_pk_add_f32 v[34:35], v[22:23], v[28:29] neg_lo:[0,1] neg_hi:[0,1]
	v_sub_f32_e32 v28, v21, v29
	v_sub_f32_e32 v45, v8, v19
	;; [unrolled: 1-line block ×3, first 2 shown]
	v_add_f32_e32 v15, v15, v18
	v_sub_f32_e32 v66, v8, v64
	v_fma_f32 v30, -0.5, v36, v49
	v_pk_add_f32 v[36:37], v[18:19], v[24:25] neg_lo:[0,1] neg_hi:[0,1]
	v_mul_f32_e32 v39, 0x3f167918, v28
	v_pk_add_f32 v[40:41], v[44:45], v[46:47]
	v_add_f32_e32 v15, v15, v24
	v_mov_b32_e32 v38, v18
	v_mov_b32_e32 v56, v24
	;; [unrolled: 1-line block ×3, first 2 shown]
	v_add_f32_e32 v52, v15, v40
	v_pk_add_f32 v[44:45], v[42:43], v[18:19] neg_lo:[0,1] neg_hi:[0,1]
	v_pk_add_f32 v[38:39], v[42:43], v[38:39]
	v_fmamk_f32 v15, v66, 0xbf737871, v30
	v_sub_f32_e32 v22, v24, v40
	v_sub_f32_e32 v18, v18, v42
	v_mov_b32_e32 v45, v39
	v_pk_add_f32 v[38:39], v[40:41], v[24:25] neg_lo:[0,1] neg_hi:[0,1]
	v_pk_mul_f32 v[46:47], v[40:41], v[56:57]
	v_pk_fma_f32 v[50:51], v[50:51], s[6:7], v[14:15] neg_lo:[1,0,0] neg_hi:[1,0,0]
	v_add_f32_e32 v15, v42, v40
	v_add_f32_e32 v18, v18, v22
	;; [unrolled: 1-line block ×3, first 2 shown]
	v_mov_b32_e32 v39, v47
	v_fmac_f32_e32 v14, -0.5, v15
	v_sub_f32_e32 v16, v10, v48
	v_sub_f32_e32 v15, v27, v53
	v_pk_mul_f32 v[26:27], v[36:37], s[6:7]
	v_add_f32_e32 v22, v22, v25
	v_pk_add_f32 v[38:39], v[44:45], v[38:39]
	v_pk_add_f32 v[54:55], v[32:33], v[34:35] neg_lo:[0,1] neg_hi:[0,1]
	v_fmamk_f32 v41, v16, 0x3f737871, v14
	v_fmac_f32_e32 v14, 0xbf737871, v16
	v_pk_add_f32 v[44:45], v[32:33], v[34:35]
	v_sub_f32_e32 v8, v19, v8
	v_sub_f32_e32 v26, v25, v64
	v_add_f32_e32 v33, v22, v64
	v_fmamk_f32 v22, v28, 0x3f737871, v13
	v_fmac_f32_e32 v13, 0xbf737871, v28
	v_fmac_f32_e32 v41, 0xbf167918, v54
	;; [unrolled: 1-line block ×3, first 2 shown]
	v_mov_b32_e32 v55, v45
	v_fmac_f32_e32 v22, 0xbf167918, v17
	v_fmac_f32_e32 v13, 0x3f167918, v17
	v_add_f32_e32 v8, v8, v26
	v_fmac_f32_e32 v30, 0x3f737871, v66
	v_fmac_f32_e32 v41, 0x3e9e377a, v18
	;; [unrolled: 1-line block ×3, first 2 shown]
	v_pk_mul_f32 v[18:19], v[54:55], s[4:5]
	v_fmac_f32_e32 v22, 0x3e9e377a, v8
	v_fmac_f32_e32 v13, 0x3e9e377a, v8
	v_add_f32_e32 v8, v27, v30
	v_fmac_f32_e32 v15, 0xbf167918, v28
	v_add_f32_e32 v30, v19, v8
	v_fmamk_f32 v28, v37, 0xbf737871, v20
	v_sub_f32_e32 v8, v21, v31
	v_sub_f32_e32 v17, v29, v23
	v_fmac_f32_e32 v20, 0x3f737871, v37
	v_add_f32_e32 v8, v8, v17
	v_fmac_f32_e32 v20, 0xbf167918, v66
	v_fmac_f32_e32 v20, 0x3e9e377a, v8
	v_sub_f32_e32 v18, v50, v18
	v_mul_f32_e32 v17, 0xbf737871, v20
	v_add_f32_e32 v15, v47, v15
	v_fmac_f32_e32 v18, 0xbf167918, v16
	v_mul_f32_e32 v16, 0x3f167918, v16
	v_pk_fma_f32 v[46:47], v[54:55], s[4:5], v[50:51]
	v_fmac_f32_e32 v28, 0x3f167918, v66
	v_fmamk_f32 v45, v13, 0xbe9e377a, v17
	v_mov_b32_e32 v17, 0x3f167918
	v_pk_mul_f32 v[24:25], v[38:39], s[10:11]
	v_fmac_f32_e32 v28, 0x3e9e377a, v8
	v_mul_f32_e32 v8, 0xbf167918, v30
	v_pk_add_f32 v[16:17], v[46:47], v[16:17]
	v_add_f32_e32 v35, v24, v18
	v_fmac_f32_e32 v8, 0x3f4f1bbd, v15
	v_pk_fma_f32 v[16:17], v[38:39], s[10:11], v[16:17]
	v_pk_fma_f32 v[18:19], v[46:47], s[6:7], v[24:25] neg_lo:[1,0,0] neg_hi:[1,0,0]
	v_add_f32_e32 v27, v35, v8
	v_add_f32_e32 v17, v16, v19
	v_sub_f32_e32 v24, v35, v8
	v_sub_f32_e32 v8, v16, v19
	v_mov_b32_e32 v16, 2
	v_add_f32_e32 v26, v52, v33
	v_mul_f32_e32 v37, 0xbf737871, v28
	v_add_f32_e32 v50, v14, v45
	v_sub_f32_e32 v18, v52, v33
	v_sub_f32_e32 v33, v14, v45
	v_mul_u32_u24_e32 v14, 0x78, v62
	v_lshlrev_b32_sdwa v16, v16, v63 dst_sel:DWORD dst_unused:UNUSED_PAD src0_sel:DWORD src1_sel:BYTE_0
	v_fmac_f32_e32 v37, 0x3e9e377a, v22
	v_add3_u32 v14, 0, v14, v16
	v_add_f32_e32 v43, v41, v37
	v_sub_f32_e32 v25, v41, v37
	ds_write2_b32 v14, v26, v27 offset1:3
	ds_write2_b32 v14, v43, v50 offset0:6 offset1:9
	ds_write2_b32 v14, v17, v18 offset0:12 offset1:15
	;; [unrolled: 1-line block ×4, first 2 shown]
	v_add_u32_e32 v33, 0x200, v1
	s_waitcnt lgkmcnt(0)
	s_barrier
	ds_read2_b32 v[18:19], v1 offset1:81
	ds_read2_b32 v[16:17], v33 offset0:34 offset1:142
	ds_read2_b32 v[26:27], v6 offset0:28 offset1:109
	;; [unrolled: 1-line block ×3, first 2 shown]
	ds_read_b32 v5, v1 offset:2808
	s_and_saveexec_b64 s[10:11], s[2:3]
	s_cbranch_execz .LBB0_19
; %bb.18:
	ds_read_b32 v8, v1 offset:972
	ds_read_b32 v4, v1 offset:2052
	;; [unrolled: 1-line block ×3, first 2 shown]
.LBB0_19:
	s_or_b64 exec, exec, s[10:11]
	v_add_f32_e32 v35, v10, v48
	v_fma_f32 v35, -0.5, v35, v12
	v_sub_f32_e32 v37, v42, v40
	v_add_f32_e32 v6, v49, v31
	v_add_f32_e32 v31, v12, v32
	v_fmamk_f32 v38, v37, 0x3f737871, v35
	v_sub_f32_e32 v40, v32, v10
	v_sub_f32_e32 v41, v34, v48
	v_fmac_f32_e32 v35, 0xbf737871, v37
	v_add_f32_e32 v31, v31, v10
	v_fmac_f32_e32 v38, 0x3f167918, v36
	v_add_f32_e32 v40, v40, v41
	v_fmac_f32_e32 v35, 0xbf167918, v36
	v_fmac_f32_e32 v12, -0.5, v44
	v_add_f32_e32 v6, v6, v21
	v_add_f32_e32 v31, v31, v48
	v_fmac_f32_e32 v38, 0x3e9e377a, v40
	v_fmac_f32_e32 v35, 0x3e9e377a, v40
	v_fmamk_f32 v40, v36, 0xbf737871, v12
	v_sub_f32_e32 v10, v10, v32
	v_sub_f32_e32 v32, v48, v34
	v_fmac_f32_e32 v12, 0x3f737871, v36
	v_add_f32_e32 v6, v6, v29
	v_mul_f32_e32 v21, 0x3f4f1bbd, v30
	v_add_f32_e32 v31, v31, v34
	v_fmac_f32_e32 v40, 0x3f167918, v37
	v_add_f32_e32 v10, v10, v32
	v_fmac_f32_e32 v12, 0xbf167918, v37
	;; [unrolled: 2-line block ×3, first 2 shown]
	v_mul_f32_e32 v15, 0x3e9e377a, v28
	v_mul_f32_e32 v20, 0x3e9e377a, v20
	v_mul_f32_e32 v28, 0x3f4f1bbd, v47
	v_fmac_f32_e32 v40, 0x3e9e377a, v10
	v_fmac_f32_e32 v12, 0x3e9e377a, v10
	v_add_f32_e32 v10, v31, v6
	v_add_f32_e32 v23, v38, v21
	v_fmac_f32_e32 v15, 0x3f737871, v22
	v_fma_f32 v13, v13, s4, -v20
	v_fma_f32 v28, v39, s7, -v28
	v_sub_f32_e32 v6, v31, v6
	v_add_f32_e32 v22, v40, v15
	v_add_f32_e32 v20, v12, v13
	;; [unrolled: 1-line block ×3, first 2 shown]
	v_sub_f32_e32 v21, v38, v21
	v_sub_f32_e32 v30, v40, v15
	;; [unrolled: 1-line block ×4, first 2 shown]
	s_waitcnt lgkmcnt(0)
	s_barrier
	ds_write2_b32 v14, v10, v23 offset1:3
	ds_write2_b32 v14, v22, v20 offset0:6 offset1:9
	ds_write2_b32 v14, v29, v6 offset0:12 offset1:15
	;; [unrolled: 1-line block ×4, first 2 shown]
	v_add_u32_e32 v6, 0x800, v1
	s_waitcnt lgkmcnt(0)
	s_barrier
	ds_read2_b32 v[22:23], v1 offset1:81
	ds_read2_b32 v[20:21], v33 offset0:34 offset1:142
	ds_read2_b32 v[28:29], v6 offset0:28 offset1:109
	v_add_u32_e32 v6, 0x400, v1
	ds_read2_b32 v[12:13], v6 offset0:95 offset1:176
	ds_read_b32 v6, v1 offset:2808
	s_and_saveexec_b64 s[4:5], s[2:3]
	s_cbranch_execz .LBB0_21
; %bb.20:
	ds_read_b32 v15, v1 offset:972
	ds_read_b32 v11, v1 offset:2052
	ds_read_b32 v9, v1 offset:3132
.LBB0_21:
	s_or_b64 exec, exec, s[4:5]
	s_movk_i32 s4, 0x89
	v_add_u32_e32 v36, 0x51, v0
	v_mul_lo_u16_sdwa v10, v0, s4 dst_sel:DWORD dst_unused:UNUSED_PAD src0_sel:BYTE_0 src1_sel:DWORD
	v_lshrrev_b16_e32 v58, 12, v10
	v_mul_lo_u16_sdwa v30, v36, s4 dst_sel:DWORD dst_unused:UNUSED_PAD src0_sel:BYTE_0 src1_sel:DWORD
	v_mul_lo_u16_e32 v10, 30, v58
	v_lshrrev_b16_e32 v60, 12, v30
	v_sub_u16_e32 v59, v0, v10
	v_mov_b32_e32 v10, 4
	v_mul_lo_u16_e32 v30, 30, v60
	v_lshlrev_b32_sdwa v14, v10, v59 dst_sel:DWORD dst_unused:UNUSED_PAD src0_sel:DWORD src1_sel:BYTE_0
	v_sub_u16_e32 v61, v36, v30
	v_add_u32_e32 v35, 0xa2, v0
	global_load_dwordx4 v[38:41], v14, s[8:9] offset:216
	v_lshlrev_b32_sdwa v14, v10, v61 dst_sel:DWORD dst_unused:UNUSED_PAD src0_sel:DWORD src1_sel:BYTE_0
	v_add_u32_e32 v34, 0xf3, v0
	global_load_dwordx4 v[42:45], v14, s[8:9] offset:216
	v_mul_lo_u16_sdwa v14, v35, s4 dst_sel:DWORD dst_unused:UNUSED_PAD src0_sel:BYTE_0 src1_sel:DWORD
	s_mov_b32 s4, 0x8889
	v_mul_u32_u24_sdwa v30, v34, s4 dst_sel:DWORD dst_unused:UNUSED_PAD src0_sel:WORD_0 src1_sel:DWORD
	v_lshrrev_b32_e32 v30, 20, v30
	v_mul_lo_u16_e32 v30, 30, v30
	v_lshrrev_b16_e32 v62, 12, v14
	v_sub_u16_e32 v30, v34, v30
	v_mul_lo_u16_e32 v14, 30, v62
	v_lshlrev_b32_e32 v31, 4, v30
	v_sub_u16_e32 v63, v35, v14
	global_load_dwordx4 v[46:49], v31, s[8:9] offset:216
	v_lshlrev_b32_sdwa v10, v10, v63 dst_sel:DWORD dst_unused:UNUSED_PAD src0_sel:DWORD src1_sel:BYTE_0
	global_load_dwordx4 v[50:53], v10, s[8:9] offset:216
	v_mov_b32_e32 v54, 0x3f5db3d7
	v_mov_b32_e32 v55, v8
	s_waitcnt lgkmcnt(0)
	s_barrier
	s_waitcnt vmcnt(3)
	v_mul_f32_e32 v31, v21, v39
	v_mul_f32_e32 v32, v28, v41
	;; [unrolled: 1-line block ×4, first 2 shown]
	v_fmac_f32_e32 v31, v17, v38
	v_fmac_f32_e32 v32, v26, v40
	v_fma_f32 v37, v28, v40, -v14
	s_waitcnt vmcnt(2)
	v_mul_f32_e32 v14, v12, v43
	v_mul_f32_e32 v17, v24, v43
	;; [unrolled: 1-line block ×3, first 2 shown]
	v_fma_f32 v33, v21, v38, -v10
	v_fmac_f32_e32 v28, v27, v44
	v_fmac_f32_e32 v14, v24, v42
	v_fma_f32 v40, v12, v42, -v17
	s_waitcnt vmcnt(1)
	v_mul_f32_e32 v56, v11, v47
	v_mul_f32_e32 v57, v11, v46
	;; [unrolled: 1-line block ×4, first 2 shown]
	s_waitcnt vmcnt(0)
	v_mul_f32_e32 v10, v13, v51
	v_mul_f32_e32 v38, v25, v51
	v_fma_f32 v29, v29, v44, -v11
	v_mul_f32_e32 v11, v5, v53
	v_mul_f32_e32 v27, v4, v47
	;; [unrolled: 1-line block ×3, first 2 shown]
	v_fmac_f32_e32 v56, v4, v46
	v_fmac_f32_e32 v26, v7, v48
	v_mul_f32_e32 v21, v6, v53
	v_fmac_f32_e32 v10, v25, v50
	v_fma_f32 v38, v13, v50, -v38
	v_fma_f32 v39, v6, v52, -v11
	;; [unrolled: 1-line block ×3, first 2 shown]
	v_add_f32_e32 v4, v18, v31
	v_add_f32_e32 v6, v31, v32
	;; [unrolled: 1-line block ×3, first 2 shown]
	v_pk_add_f32 v[12:13], v[56:57], v[26:27] neg_lo:[0,1] neg_hi:[0,1]
	v_fmac_f32_e32 v21, v5, v52
	v_sub_f32_e32 v7, v33, v37
	v_add_f32_e32 v9, v19, v14
	v_sub_f32_e32 v24, v40, v29
	v_add_f32_e32 v25, v16, v10
	v_add_f32_e32 v43, v56, v26
	v_mov_b32_e32 v5, v56
	v_add_f32_e32 v27, v4, v32
	v_fma_f32 v6, -0.5, v6, v18
	v_fmac_f32_e32 v19, -0.5, v17
	v_sub_f32_e32 v4, v13, v11
	v_add_f32_e32 v17, v25, v21
	v_fmac_f32_e32 v8, -0.5, v43
	v_fmamk_f32 v43, v7, 0xbf5db3d7, v6
	v_fmac_f32_e32 v6, 0x3f5db3d7, v7
	v_fmamk_f32 v7, v24, 0xbf5db3d7, v19
	v_fmac_f32_e32 v19, 0x3f5db3d7, v24
	v_pk_mul_f32 v[24:25], v[54:55], v[4:5]
	v_pk_add_f32 v[4:5], v[54:55], v[4:5]
	v_add_f32_e32 v18, v9, v28
	v_mov_b32_e32 v25, v5
	v_mov_b32_e32 v9, v26
	v_pk_add_f32 v[4:5], v[24:25], v[8:9]
	v_mov_b32_e32 v25, 2
	v_add_f32_e32 v41, v10, v21
	v_mul_u32_u24_e32 v9, 0x168, v58
	v_lshlrev_b32_sdwa v26, v25, v59 dst_sel:DWORD dst_unused:UNUSED_PAD src0_sel:DWORD src1_sel:BYTE_0
	v_fmac_f32_e32 v16, -0.5, v41
	v_add3_u32 v41, 0, v9, v26
	v_sub_f32_e32 v42, v38, v39
	ds_write2_b32 v41, v27, v43 offset1:30
	ds_write_b32 v41, v6 offset:240
	v_mul_u32_u24_e32 v6, 0x168, v60
	v_lshlrev_b32_sdwa v9, v25, v61 dst_sel:DWORD dst_unused:UNUSED_PAD src0_sel:DWORD src1_sel:BYTE_0
	v_fmamk_f32 v45, v42, 0xbf5db3d7, v16
	v_fmac_f32_e32 v16, 0x3f5db3d7, v42
	v_add3_u32 v42, 0, v6, v9
	ds_write2_b32 v42, v18, v7 offset1:30
	ds_write_b32 v42, v19 offset:240
	v_mul_u32_u24_e32 v6, 0x168, v62
	v_lshlrev_b32_sdwa v7, v25, v63 dst_sel:DWORD dst_unused:UNUSED_PAD src0_sel:DWORD src1_sel:BYTE_0
	v_add3_u32 v44, 0, v6, v7
	ds_write2_b32 v44, v17, v45 offset1:30
	ds_write_b32 v44, v16 offset:240
                                        ; implicit-def: $vgpr6
	s_and_saveexec_b64 s[4:5], vcc
	s_xor_b64 s[4:5], exec, s[4:5]
; %bb.22:
	v_mov_b32_e32 v6, v5
; %bb.23:
	s_or_saveexec_b64 s[4:5], s[4:5]
	v_sub_f32_e32 v7, v8, v24
	v_lshl_add_u32 v43, v30, 2, 0
	s_xor_b64 exec, exec, s[4:5]
	s_cbranch_execz .LBB0_25
; %bb.24:
	v_add_u32_e32 v6, 0x800, v43
	ds_write2_b32 v6, v5, v7 offset0:208 offset1:238
	ds_write_b32 v43, v4 offset:3120
	v_mov_b32_e32 v6, v5
.LBB0_25:
	s_or_b64 exec, exec, s[4:5]
	v_add_u32_e32 v5, 0x200, v1
	s_waitcnt lgkmcnt(0)
	s_barrier
	ds_read2_b32 v[16:17], v5 offset0:34 offset1:142
	v_add_u32_e32 v5, 0x800, v1
	ds_read2_b32 v[26:27], v5 offset0:28 offset1:109
	v_add_u32_e32 v5, 0x400, v1
	ds_read2_b32 v[18:19], v1 offset1:81
	ds_read2_b32 v[24:25], v5 offset0:95 offset1:176
	ds_read_b32 v30, v1 offset:2808
	s_and_saveexec_b64 s[4:5], vcc
	s_xor_b64 s[4:5], exec, s[4:5]
; %bb.26:
	v_mov_b32_e32 v5, v6
; %bb.27:
	s_andn2_saveexec_b64 s[4:5], s[4:5]
	s_cbranch_execz .LBB0_29
; %bb.28:
	ds_read_b32 v5, v1 offset:972
	ds_read_b32 v7, v1 offset:2052
	ds_read_b32 v4, v1 offset:3132
	s_waitcnt lgkmcnt(2)
	v_mov_b32_e32 v6, v5
.LBB0_29:
	s_or_b64 exec, exec, s[4:5]
	v_add_f32_e32 v8, v22, v33
	v_add_f32_e32 v45, v8, v37
	;; [unrolled: 1-line block ×3, first 2 shown]
	v_fma_f32 v22, -0.5, v8, v22
	v_sub_f32_e32 v8, v31, v32
	v_fmamk_f32 v31, v8, 0x3f5db3d7, v22
	v_fmac_f32_e32 v22, 0xbf5db3d7, v8
	v_add_f32_e32 v8, v23, v40
	v_add_f32_e32 v32, v8, v29
	;; [unrolled: 1-line block ×3, first 2 shown]
	v_fmac_f32_e32 v23, -0.5, v8
	v_sub_f32_e32 v8, v14, v28
	v_fmamk_f32 v33, v8, 0x3f5db3d7, v23
	v_fmac_f32_e32 v23, 0xbf5db3d7, v8
	v_add_f32_e32 v8, v20, v38
	v_add_f32_e32 v37, v8, v39
	;; [unrolled: 1-line block ×3, first 2 shown]
	v_fmac_f32_e32 v20, -0.5, v8
	v_sub_f32_e32 v8, v10, v21
	v_mov_b32_e32 v14, 0x3f5db3d7
	v_add_f32_e32 v10, v13, v11
	v_fmamk_f32 v21, v8, 0x3f5db3d7, v20
	v_fmac_f32_e32 v20, 0xbf5db3d7, v8
	v_pk_mul_f32 v[8:9], v[14:15], v[12:13]
	v_pk_add_f32 v[28:29], v[14:15], v[12:13]
	v_fmac_f32_e32 v15, -0.5, v10
	v_mov_b32_e32 v9, v29
	v_mov_b32_e32 v10, v15
	v_pk_add_f32 v[12:13], v[8:9], v[10:11]
	s_waitcnt lgkmcnt(0)
	s_barrier
	ds_write2_b32 v41, v45, v31 offset1:30
	ds_write_b32 v41, v22 offset:240
	ds_write2_b32 v42, v32, v33 offset1:30
	ds_write_b32 v42, v23 offset:240
	;; [unrolled: 2-line block ×3, first 2 shown]
                                        ; implicit-def: $vgpr10
	s_and_saveexec_b64 s[4:5], vcc
	s_xor_b64 s[4:5], exec, s[4:5]
; %bb.30:
	v_mov_b32_e32 v10, v13
                                        ; implicit-def: $vgpr43
; %bb.31:
	s_or_saveexec_b64 s[4:5], s[4:5]
	v_sub_f32_e32 v11, v15, v8
	s_xor_b64 exec, exec, s[4:5]
	s_cbranch_execz .LBB0_33
; %bb.32:
	v_add_u32_e32 v8, 0x800, v43
	v_mov_b32_e32 v10, v13
	ds_write2_b32 v8, v13, v12 offset0:208 offset1:238
	ds_write_b32 v43, v11 offset:3120
.LBB0_33:
	s_or_b64 exec, exec, s[4:5]
	v_add_u32_e32 v8, 0x200, v1
	s_waitcnt lgkmcnt(0)
	s_barrier
	ds_read2_b32 v[20:21], v8 offset0:34 offset1:142
	v_add_u32_e32 v8, 0x800, v1
	ds_read2_b32 v[28:29], v8 offset0:28 offset1:109
	v_add_u32_e32 v8, 0x400, v1
	ds_read2_b32 v[14:15], v1 offset1:81
	ds_read2_b32 v[22:23], v8 offset0:95 offset1:176
	ds_read_b32 v31, v1 offset:2808
	s_and_saveexec_b64 s[4:5], vcc
	s_xor_b64 s[4:5], exec, s[4:5]
; %bb.34:
	v_mov_b32_e32 v13, v10
; %bb.35:
	s_andn2_saveexec_b64 s[4:5], s[4:5]
	s_cbranch_execz .LBB0_37
; %bb.36:
	ds_read_b32 v13, v1 offset:972
	ds_read_b32 v12, v1 offset:2052
	;; [unrolled: 1-line block ×3, first 2 shown]
	s_waitcnt lgkmcnt(2)
	v_mov_b32_e32 v10, v13
.LBB0_37:
	s_or_b64 exec, exec, s[4:5]
	v_lshlrev_b32_e32 v32, 1, v0
	v_mov_b32_e32 v33, 0
	v_lshl_add_u64 v[8:9], v[32:33], 3, s[8:9]
	v_add_u32_e32 v32, -9, v0
	v_cmp_gt_u32_e64 s[4:5], 9, v0
	global_load_dwordx4 v[40:43], v[8:9], off offset:696
	v_mov_b32_e32 v58, 0x3f5db3d7
	v_cndmask_b32_e64 v60, v32, v36, s[4:5]
	v_lshlrev_b32_e32 v32, 1, v60
	v_lshl_add_u64 v[32:33], v[32:33], 3, s[8:9]
	s_movk_i32 s4, 0xb7
	global_load_dwordx4 v[46:49], v[32:33], off offset:696
	v_mul_lo_u16_sdwa v33, v35, s4 dst_sel:DWORD dst_unused:UNUSED_PAD src0_sel:BYTE_0 src1_sel:DWORD
	v_lshrrev_b16_e32 v61, 14, v33
	v_mul_lo_u16_e32 v33, 0x5a, v61
	v_mov_b32_e32 v32, 4
	s_movk_i32 s5, 0x2d83
	v_sub_u16_e32 v62, v35, v33
	v_mul_u32_u24_sdwa v37, v34, s5 dst_sel:DWORD dst_unused:UNUSED_PAD src0_sel:WORD_0 src1_sel:DWORD
	v_lshlrev_b32_sdwa v32, v32, v62 dst_sel:DWORD dst_unused:UNUSED_PAD src0_sel:DWORD src1_sel:BYTE_0
	global_load_dwordx4 v[50:53], v32, s[8:9] offset:696
	v_lshrrev_b32_e32 v32, 20, v37
	v_mul_lo_u16_e32 v32, 0x5a, v32
	v_sub_u16_e32 v45, v34, v32
	v_lshlrev_b32_e32 v32, 4, v45
	global_load_dwordx4 v[54:57], v32, s[8:9] offset:696
	v_mov_b32_e32 v59, v5
	v_cmp_lt_u32_e64 s[4:5], 8, v0
	s_waitcnt lgkmcnt(0)
	s_barrier
	s_waitcnt vmcnt(3)
	v_mul_f32_e32 v32, v21, v41
	v_mul_f32_e32 v33, v17, v41
	;; [unrolled: 1-line block ×3, first 2 shown]
	v_fmac_f32_e32 v32, v17, v40
	v_fma_f32 v40, v21, v40, -v33
	v_mul_f32_e32 v38, v26, v43
	s_waitcnt vmcnt(2)
	v_mul_f32_e32 v33, v29, v49
	v_fmac_f32_e32 v37, v26, v42
	v_mul_f32_e32 v21, v22, v47
	v_mul_f32_e32 v17, v24, v47
	;; [unrolled: 1-line block ×3, first 2 shown]
	v_fmac_f32_e32 v33, v27, v48
	v_add_f32_e32 v27, v18, v32
	v_fma_f32 v41, v28, v42, -v38
	v_add_f32_e32 v28, v32, v37
	v_fmac_f32_e32 v21, v24, v46
	v_fma_f32 v43, v22, v46, -v17
	v_add_f32_e32 v17, v27, v37
	s_waitcnt vmcnt(1)
	v_mul_f32_e32 v22, v25, v51
	v_mul_f32_e32 v39, v31, v53
	;; [unrolled: 1-line block ×3, first 2 shown]
	v_fma_f32 v42, v29, v48, -v26
	v_sub_f32_e32 v26, v40, v41
	v_fma_f32 v18, -0.5, v28, v18
	v_mul_f32_e32 v38, v23, v51
	s_waitcnt vmcnt(0)
	v_mul_f32_e32 v24, v12, v55
	v_fma_f32 v44, v23, v50, -v22
	v_mul_f32_e32 v22, v11, v57
	v_fmac_f32_e32 v39, v30, v52
	v_fma_f32 v30, v31, v52, -v27
	v_add_f32_e32 v27, v21, v33
	v_fmac_f32_e32 v38, v25, v50
	v_mul_f32_e32 v25, v12, v54
	v_mul_f32_e32 v23, v7, v55
	v_fmamk_f32 v46, v26, 0xbf5db3d7, v18
	v_fmac_f32_e32 v18, 0x3f5db3d7, v26
	v_mul_f32_e32 v26, v4, v57
	v_add_f32_e32 v28, v19, v21
	v_sub_f32_e32 v29, v43, v42
	v_fmac_f32_e32 v24, v7, v54
	v_fmac_f32_e32 v22, v4, v56
	v_fmac_f32_e32 v19, -0.5, v27
	v_add_f32_e32 v31, v28, v33
	v_fma_f32 v11, v11, v56, -v26
	v_fmamk_f32 v26, v29, 0xbf5db3d7, v19
	v_fmac_f32_e32 v19, 0x3f5db3d7, v29
	v_pk_add_f32 v[28:29], v[24:25], v[22:23] neg_lo:[0,1] neg_hi:[0,1]
	v_add_f32_e32 v49, v24, v22
	v_mov_b32_e32 v25, v24
	v_sub_f32_e32 v24, v29, v11
	v_mov_b32_e32 v7, v22
	v_pk_mul_f32 v[22:23], v[58:59], v[24:25]
	v_pk_add_f32 v[4:5], v[4:5], v[24:25]
	v_fmac_f32_e32 v6, -0.5, v49
	v_mov_b32_e32 v23, v5
	v_pk_add_f32 v[4:5], v[22:23], v[6:7]
	v_mov_b32_e32 v7, 0x438
	v_add_f32_e32 v47, v38, v39
	ds_write2_b32 v1, v17, v46 offset1:90
	ds_write_b32 v1, v18 offset:720
	v_cndmask_b32_e64 v7, 0, v7, s[4:5]
	v_lshlrev_b32_e32 v17, 2, v60
	v_mov_b32_e32 v18, 2
	v_add_f32_e32 v27, v16, v38
	v_sub_f32_e32 v48, v44, v30
	v_fmac_f32_e32 v16, -0.5, v47
	v_add3_u32 v7, 0, v7, v17
	v_mul_u32_u24_e32 v17, 0x438, v61
	v_lshlrev_b32_sdwa v18, v18, v62 dst_sel:DWORD dst_unused:UNUSED_PAD src0_sel:DWORD src1_sel:BYTE_0
	v_add_f32_e32 v27, v27, v39
	v_fmamk_f32 v47, v48, 0xbf5db3d7, v16
	v_add3_u32 v46, 0, v17, v18
	v_fmac_f32_e32 v16, 0x3f5db3d7, v48
	ds_write2_b32 v7, v31, v26 offset1:90
	ds_write_b32 v7, v19 offset:720
	ds_write2_b32 v46, v27, v47 offset1:90
	ds_write_b32 v46, v16 offset:720
	s_and_saveexec_b64 s[4:5], vcc
	s_xor_b64 s[4:5], exec, s[4:5]
	s_or_saveexec_b64 s[4:5], s[4:5]
	v_sub_f32_e32 v6, v6, v22
	v_lshl_add_u32 v23, v45, 2, 0
	s_xor_b64 exec, exec, s[4:5]
	s_cbranch_execz .LBB0_39
; %bb.38:
	v_add_u32_e32 v16, 0x800, v23
	ds_write2_b32 v16, v5, v6 offset0:28 offset1:118
	ds_write_b32 v23, v4 offset:2880
.LBB0_39:
	s_or_b64 exec, exec, s[4:5]
	v_add_u32_e32 v18, 0x800, v1
	s_waitcnt lgkmcnt(0)
	s_barrier
	v_add_u32_e32 v16, 0x200, v1
	ds_read2_b32 v[24:25], v18 offset0:28 offset1:109
	v_add_u32_e32 v18, 0x400, v1
	ds_read2_b32 v[26:27], v1 offset1:81
	ds_read2_b32 v[16:17], v16 offset0:34 offset1:142
	ds_read2_b32 v[18:19], v18 offset0:95 offset1:176
	ds_read_b32 v22, v1 offset:2808
	s_and_saveexec_b64 s[4:5], vcc
	s_xor_b64 s[4:5], exec, s[4:5]
	s_andn2_saveexec_b64 s[4:5], s[4:5]
	s_cbranch_execz .LBB0_41
; %bb.40:
	ds_read_b32 v5, v1 offset:972
	ds_read_b32 v6, v1 offset:2052
	;; [unrolled: 1-line block ×3, first 2 shown]
.LBB0_41:
	s_or_b64 exec, exec, s[4:5]
	v_add_f32_e32 v31, v14, v40
	v_add_f32_e32 v45, v31, v41
	v_add_f32_e32 v31, v40, v41
	v_fma_f32 v14, -0.5, v31, v14
	v_sub_f32_e32 v31, v32, v37
	v_fmamk_f32 v32, v31, 0x3f5db3d7, v14
	v_fmac_f32_e32 v14, 0xbf5db3d7, v31
	v_add_f32_e32 v31, v15, v43
	v_add_f32_e32 v37, v31, v42
	;; [unrolled: 1-line block ×3, first 2 shown]
	v_fmac_f32_e32 v15, -0.5, v31
	v_sub_f32_e32 v21, v21, v33
	v_fmamk_f32 v33, v21, 0x3f5db3d7, v15
	v_fmac_f32_e32 v15, 0xbf5db3d7, v21
	v_add_f32_e32 v21, v20, v44
	v_add_f32_e32 v21, v21, v30
	;; [unrolled: 1-line block ×3, first 2 shown]
	v_fmac_f32_e32 v20, -0.5, v30
	v_sub_f32_e32 v30, v38, v39
	v_fmamk_f32 v38, v30, 0x3f5db3d7, v20
	v_fmac_f32_e32 v20, 0xbf5db3d7, v30
	v_mov_b32_e32 v30, 0x3f5db3d7
	v_mov_b32_e32 v31, v13
	v_pk_add_f32 v[12:13], v[12:13], v[28:29]
	v_pk_mul_f32 v[30:31], v[30:31], v[28:29]
	v_add_f32_e32 v12, v29, v11
	v_mov_b32_e32 v31, v13
	v_fmac_f32_e32 v10, -0.5, v12
	v_pk_add_f32 v[12:13], v[30:31], v[10:11]
	s_waitcnt lgkmcnt(0)
	s_barrier
	ds_write2_b32 v1, v45, v32 offset1:90
	ds_write_b32 v1, v14 offset:720
	ds_write2_b32 v7, v37, v33 offset1:90
	ds_write_b32 v7, v15 offset:720
	ds_write2_b32 v46, v21, v38 offset1:90
	ds_write_b32 v46, v20 offset:720
	s_and_saveexec_b64 s[4:5], vcc
	s_xor_b64 s[4:5], exec, s[4:5]
; %bb.42:
                                        ; implicit-def: $vgpr23
; %bb.43:
	s_or_saveexec_b64 s[4:5], s[4:5]
	v_sub_f32_e32 v10, v10, v30
	s_xor_b64 exec, exec, s[4:5]
	s_cbranch_execz .LBB0_45
; %bb.44:
	v_add_u32_e32 v7, 0x800, v23
	ds_write2_b32 v7, v13, v12 offset0:28 offset1:118
	ds_write_b32 v23, v10 offset:2880
.LBB0_45:
	s_or_b64 exec, exec, s[4:5]
	v_add_u32_e32 v7, 0x200, v1
	s_waitcnt lgkmcnt(0)
	s_barrier
	ds_read2_b32 v[32:33], v7 offset0:34 offset1:142
	v_add_u32_e32 v7, 0x800, v1
	ds_read2_b32 v[30:31], v7 offset0:28 offset1:109
	v_add_u32_e32 v7, 0x400, v1
	ds_read2_b32 v[14:15], v1 offset1:81
	ds_read2_b32 v[20:21], v7 offset0:95 offset1:176
	ds_read_b32 v28, v1 offset:2808
	s_and_saveexec_b64 s[4:5], vcc
	s_xor_b64 s[4:5], exec, s[4:5]
	s_cbranch_execnz .LBB0_49
; %bb.46:
	s_andn2_saveexec_b64 s[4:5], s[4:5]
	s_cbranch_execnz .LBB0_50
.LBB0_47:
	s_or_b64 exec, exec, s[4:5]
	s_and_saveexec_b64 s[4:5], s[0:1]
	s_cbranch_execnz .LBB0_51
.LBB0_48:
	s_endpgm
.LBB0_49:
                                        ; implicit-def: $vgpr1
	s_andn2_saveexec_b64 s[4:5], s[4:5]
	s_cbranch_execz .LBB0_47
.LBB0_50:
	ds_read_b32 v13, v1 offset:972
	ds_read_b32 v12, v1 offset:2052
	;; [unrolled: 1-line block ×3, first 2 shown]
	s_or_b64 exec, exec, s[4:5]
	s_and_saveexec_b64 s[4:5], s[0:1]
	s_cbranch_execz .LBB0_48
.LBB0_51:
	global_load_dwordx4 v[38:41], v[8:9], off offset:2136
	v_lshlrev_b32_e32 v8, 1, v35
	v_mov_b32_e32 v9, 0
	v_lshl_add_u64 v[42:43], v[8:9], 3, s[8:9]
	v_lshlrev_b32_e32 v8, 1, v36
	v_lshl_add_u64 v[36:37], v[8:9], 3, s[8:9]
	global_load_dwordx4 v[42:45], v[42:43], off offset:2136
	v_mov_b32_e32 v50, v17
	global_load_dwordx4 v[46:49], v[36:37], off offset:2136
	s_waitcnt lgkmcnt(4)
	v_mov_b32_e32 v36, v33
	v_mov_b32_e32 v52, v17
	;; [unrolled: 1-line block ×3, first 2 shown]
	s_waitcnt lgkmcnt(3)
	v_mov_b32_e32 v26, v31
	v_mov_b32_e32 v56, v25
	;; [unrolled: 1-line block ×3, first 2 shown]
	s_waitcnt lgkmcnt(2)
	v_mov_b32_e32 v55, v14
	s_waitcnt lgkmcnt(1)
	v_mov_b32_e32 v60, v21
	s_mov_b32 s0, 0x3f5db3d7
	s_movk_i32 s1, 0x1000
	v_mov_b32_e32 v14, v27
	v_mov_b32_e32 v62, v19
	;; [unrolled: 1-line block ×4, first 2 shown]
	v_lshl_add_u64 v[2:3], v[0:1], 3, v[2:3]
	s_mov_b32 s4, 0xf2b9d649
	v_mov_b32_e32 v17, v32
	v_mul_hi_u32 v7, v35, s4
	v_add_co_u32_e32 v32, vcc, s1, v2
	v_lshrrev_b32_e32 v1, 8, v7
	s_nop 0
	v_addc_co_u32_e32 v33, vcc, 0, v3, vcc
	v_mul_u32_u24_e32 v8, 0x21c, v1
	v_lshl_add_u64 v[66:67], v[8:9], 3, v[2:3]
	s_waitcnt vmcnt(2)
	v_pk_mul_f32 v[36:37], v[36:37], v[38:39] op_sel_hi:[0,1]
	v_pk_mul_f32 v[30:31], v[30:31], v[40:41] op_sel_hi:[0,1]
	v_pk_fma_f32 v[50:51], v[50:51], v[38:39], v[36:37] op_sel:[0,0,1] op_sel_hi:[1,1,0]
	v_pk_fma_f32 v[36:37], v[52:53], v[38:39], v[36:37] op_sel:[0,0,1] op_sel_hi:[0,1,0] neg_lo:[1,0,0] neg_hi:[1,0,0]
	v_pk_fma_f32 v[38:39], v[24:25], v[40:41], v[30:31] op_sel:[0,0,1] op_sel_hi:[1,1,0]
	v_pk_fma_f32 v[24:25], v[24:25], v[40:41], v[30:31] op_sel:[0,0,1] op_sel_hi:[0,1,0] neg_lo:[1,0,0] neg_hi:[1,0,0]
	v_mov_b32_e32 v51, v37
	v_mov_b32_e32 v39, v25
	s_waitcnt vmcnt(1)
	v_pk_mul_f32 v[24:25], v[60:61], v[42:43] op_sel_hi:[0,1]
	s_waitcnt lgkmcnt(0)
	v_pk_mul_f32 v[28:29], v[28:29], v[44:45] op_sel_hi:[0,1]
	v_pk_add_f32 v[30:31], v[54:55], v[50:51]
	v_pk_add_f32 v[36:37], v[50:51], v[38:39]
	v_pk_add_f32 v[40:41], v[50:51], v[38:39] neg_lo:[0,1] neg_hi:[0,1]
	s_waitcnt vmcnt(0)
	v_pk_mul_f32 v[20:21], v[20:21], v[46:47] op_sel_hi:[0,1]
	v_pk_mul_f32 v[26:27], v[26:27], v[48:49] op_sel_hi:[0,1]
	v_pk_fma_f32 v[50:51], v[62:63], v[42:43], v[24:25] op_sel:[0,0,1] op_sel_hi:[1,1,0]
	v_pk_fma_f32 v[24:25], v[64:65], v[42:43], v[24:25] op_sel:[0,0,1] op_sel_hi:[0,1,0] neg_lo:[1,0,0] neg_hi:[1,0,0]
	v_pk_fma_f32 v[42:43], v[22:23], v[44:45], v[28:29] op_sel:[0,0,1] op_sel_hi:[1,1,0]
	v_pk_fma_f32 v[22:23], v[22:23], v[44:45], v[28:29] op_sel:[0,0,1] op_sel_hi:[0,1,0] neg_lo:[1,0,0] neg_hi:[1,0,0]
	v_pk_add_f32 v[28:29], v[30:31], v[38:39]
	v_pk_fma_f32 v[30:31], v[36:37], 0.5, v[54:55] op_sel_hi:[1,0,1] neg_lo:[1,0,0] neg_hi:[1,0,0]
	v_pk_mul_f32 v[36:37], v[40:41], s[0:1] op_sel_hi:[1,0]
	v_pk_fma_f32 v[38:39], v[18:19], v[46:47], v[20:21] op_sel:[0,0,1] op_sel_hi:[1,1,0]
	v_pk_fma_f32 v[18:19], v[18:19], v[46:47], v[20:21] op_sel:[0,0,1] op_sel_hi:[0,1,0] neg_lo:[1,0,0] neg_hi:[1,0,0]
	v_pk_fma_f32 v[20:21], v[56:57], v[48:49], v[26:27] op_sel:[0,0,1] op_sel_hi:[1,1,0]
	v_pk_fma_f32 v[26:27], v[58:59], v[48:49], v[26:27] op_sel:[0,0,1] op_sel_hi:[0,1,0] neg_lo:[1,0,0] neg_hi:[1,0,0]
	v_mov_b32_e32 v51, v25
	v_mov_b32_e32 v43, v23
	v_pk_add_f32 v[22:23], v[30:31], v[36:37] op_sel:[0,1] op_sel_hi:[1,0] neg_lo:[0,1] neg_hi:[0,1]
	v_pk_add_f32 v[24:25], v[30:31], v[36:37] op_sel:[0,1] op_sel_hi:[1,0]
	v_mov_b32_e32 v39, v19
	v_mov_b32_e32 v21, v27
	global_store_dwordx2 v[2:3], v[28:29], off
	v_mov_b32_e32 v28, v22
	v_mov_b32_e32 v29, v25
	;; [unrolled: 1-line block ×3, first 2 shown]
	v_pk_add_f32 v[22:23], v[14:15], v[38:39]
	v_pk_add_f32 v[30:31], v[38:39], v[20:21]
	v_pk_add_f32 v[36:37], v[38:39], v[20:21] neg_lo:[0,1] neg_hi:[0,1]
	v_pk_add_f32 v[20:21], v[22:23], v[20:21]
	v_pk_fma_f32 v[14:15], v[30:31], 0.5, v[14:15] op_sel_hi:[1,0,1] neg_lo:[1,0,0] neg_hi:[1,0,0]
	v_pk_mul_f32 v[22:23], v[36:37], s[0:1] op_sel_hi:[1,0]
	global_store_dwordx2 v[2:3], v[28:29], off offset:2160
	global_store_dwordx2 v[32:33], v[24:25], off offset:224
	global_store_dwordx2 v[2:3], v[20:21], off offset:648
	v_pk_add_f32 v[20:21], v[14:15], v[22:23] op_sel:[0,1] op_sel_hi:[1,0] neg_lo:[0,1] neg_hi:[0,1]
	v_pk_add_f32 v[14:15], v[14:15], v[22:23] op_sel:[0,1] op_sel_hi:[1,0]
	v_pk_add_f32 v[18:19], v[16:17], v[50:51]
	v_mov_b32_e32 v22, v20
	v_mov_b32_e32 v23, v15
	;; [unrolled: 1-line block ×3, first 2 shown]
	v_pk_add_f32 v[26:27], v[50:51], v[42:43]
	v_pk_add_f32 v[18:19], v[18:19], v[42:43]
	global_store_dwordx2 v[2:3], v[22:23], off offset:2808
	global_store_dwordx2 v[32:33], v[14:15], off offset:872
	;; [unrolled: 1-line block ×3, first 2 shown]
	v_pk_add_f32 v[14:15], v[50:51], v[42:43] neg_lo:[0,1] neg_hi:[0,1]
	v_pk_fma_f32 v[16:17], v[26:27], 0.5, v[16:17] op_sel_hi:[1,0,1] neg_lo:[1,0,0] neg_hi:[1,0,0]
	v_pk_mul_f32 v[14:15], v[14:15], s[0:1] op_sel_hi:[1,0]
	s_nop 0
	v_pk_add_f32 v[18:19], v[16:17], v[14:15] op_sel:[0,1] op_sel_hi:[1,0] neg_lo:[0,1] neg_hi:[0,1]
	v_pk_add_f32 v[14:15], v[16:17], v[14:15] op_sel:[0,1] op_sel_hi:[1,0]
	v_mov_b32_e32 v16, v18
	v_mov_b32_e32 v17, v15
	global_store_dwordx2 v[66:67], v[16:17], off offset:3456
	v_add_co_u32_e32 v16, vcc, 0x1000, v66
	v_mov_b32_e32 v15, v19
	s_nop 0
	v_addc_co_u32_e32 v17, vcc, 0, v67, vcc
	global_store_dwordx2 v[16:17], v[14:15], off offset:1520
	s_and_b64 exec, exec, s[2:3]
	s_cbranch_execz .LBB0_48
; %bb.52:
	v_subrev_u32_e32 v0, 27, v0
	v_cndmask_b32_e64 v0, v0, v34, s[2:3]
	v_lshlrev_b32_e32 v8, 1, v0
	v_lshl_add_u64 v[0:1], v[8:9], 3, s[8:9]
	global_load_dwordx4 v[14:17], v[0:1], off offset:2136
	v_add_co_u32_e32 v0, vcc, 0x1000, v2
	s_waitcnt vmcnt(0)
	v_pk_mul_f32 v[8:9], v[12:13], v[14:15] op_sel_hi:[0,1]
	v_pk_mul_f32 v[10:11], v[10:11], v[16:17] op_sel_hi:[0,1]
	v_mov_b32_e32 v12, v5
	v_pk_fma_f32 v[18:19], v[6:7], v[14:15], v[8:9] op_sel:[0,0,1] op_sel_hi:[1,1,0]
	v_pk_fma_f32 v[6:7], v[6:7], v[14:15], v[8:9] op_sel:[0,0,1] op_sel_hi:[0,1,0] neg_lo:[1,0,0] neg_hi:[1,0,0]
	v_pk_fma_f32 v[8:9], v[4:5], v[16:17], v[10:11] op_sel:[0,0,1] op_sel_hi:[1,1,0]
	v_pk_fma_f32 v[4:5], v[4:5], v[16:17], v[10:11] op_sel:[0,0,1] op_sel_hi:[0,1,0] neg_lo:[1,0,0] neg_hi:[1,0,0]
	v_mov_b32_e32 v19, v7
	v_mov_b32_e32 v9, v5
	v_pk_add_f32 v[4:5], v[12:13], v[18:19]
	v_pk_add_f32 v[6:7], v[18:19], v[8:9]
	v_pk_add_f32 v[10:11], v[18:19], v[8:9] neg_lo:[0,1] neg_hi:[0,1]
	v_pk_add_f32 v[4:5], v[4:5], v[8:9]
	v_pk_fma_f32 v[6:7], -0.5, v[6:7], v[12:13] op_sel_hi:[0,1,1]
	v_pk_mul_f32 v[8:9], v[10:11], s[0:1] op_sel_hi:[1,0]
	v_addc_co_u32_e32 v1, vcc, 0, v3, vcc
	v_pk_add_f32 v[10:11], v[6:7], v[8:9] op_sel:[0,1] op_sel_hi:[1,0] neg_lo:[0,1] neg_hi:[0,1]
	v_pk_add_f32 v[6:7], v[6:7], v[8:9] op_sel:[0,1] op_sel_hi:[1,0]
	global_store_dwordx2 v[2:3], v[4:5], off offset:1944
	v_mov_b32_e32 v2, v10
	v_mov_b32_e32 v3, v7
	;; [unrolled: 1-line block ×3, first 2 shown]
	global_store_dwordx2 v[0:1], v[2:3], off offset:8
	global_store_dwordx2 v[0:1], v[6:7], off offset:2168
	s_endpgm
	.section	.rodata,"a",@progbits
	.p2align	6, 0x0
	.amdhsa_kernel fft_rtc_back_len810_factors_3_10_3_3_3_wgs_81_tpt_81_halfLds_sp_ip_CI_unitstride_sbrr_dirReg
		.amdhsa_group_segment_fixed_size 0
		.amdhsa_private_segment_fixed_size 0
		.amdhsa_kernarg_size 88
		.amdhsa_user_sgpr_count 2
		.amdhsa_user_sgpr_dispatch_ptr 0
		.amdhsa_user_sgpr_queue_ptr 0
		.amdhsa_user_sgpr_kernarg_segment_ptr 1
		.amdhsa_user_sgpr_dispatch_id 0
		.amdhsa_user_sgpr_kernarg_preload_length 0
		.amdhsa_user_sgpr_kernarg_preload_offset 0
		.amdhsa_user_sgpr_private_segment_size 0
		.amdhsa_uses_dynamic_stack 0
		.amdhsa_enable_private_segment 0
		.amdhsa_system_sgpr_workgroup_id_x 1
		.amdhsa_system_sgpr_workgroup_id_y 0
		.amdhsa_system_sgpr_workgroup_id_z 0
		.amdhsa_system_sgpr_workgroup_info 0
		.amdhsa_system_vgpr_workitem_id 0
		.amdhsa_next_free_vgpr 68
		.amdhsa_next_free_sgpr 22
		.amdhsa_accum_offset 68
		.amdhsa_reserve_vcc 1
		.amdhsa_float_round_mode_32 0
		.amdhsa_float_round_mode_16_64 0
		.amdhsa_float_denorm_mode_32 3
		.amdhsa_float_denorm_mode_16_64 3
		.amdhsa_dx10_clamp 1
		.amdhsa_ieee_mode 1
		.amdhsa_fp16_overflow 0
		.amdhsa_tg_split 0
		.amdhsa_exception_fp_ieee_invalid_op 0
		.amdhsa_exception_fp_denorm_src 0
		.amdhsa_exception_fp_ieee_div_zero 0
		.amdhsa_exception_fp_ieee_overflow 0
		.amdhsa_exception_fp_ieee_underflow 0
		.amdhsa_exception_fp_ieee_inexact 0
		.amdhsa_exception_int_div_zero 0
	.end_amdhsa_kernel
	.text
.Lfunc_end0:
	.size	fft_rtc_back_len810_factors_3_10_3_3_3_wgs_81_tpt_81_halfLds_sp_ip_CI_unitstride_sbrr_dirReg, .Lfunc_end0-fft_rtc_back_len810_factors_3_10_3_3_3_wgs_81_tpt_81_halfLds_sp_ip_CI_unitstride_sbrr_dirReg
                                        ; -- End function
	.section	.AMDGPU.csdata,"",@progbits
; Kernel info:
; codeLenInByte = 7220
; NumSgprs: 28
; NumVgprs: 68
; NumAgprs: 0
; TotalNumVgprs: 68
; ScratchSize: 0
; MemoryBound: 0
; FloatMode: 240
; IeeeMode: 1
; LDSByteSize: 0 bytes/workgroup (compile time only)
; SGPRBlocks: 3
; VGPRBlocks: 8
; NumSGPRsForWavesPerEU: 28
; NumVGPRsForWavesPerEU: 68
; AccumOffset: 68
; Occupancy: 7
; WaveLimiterHint : 1
; COMPUTE_PGM_RSRC2:SCRATCH_EN: 0
; COMPUTE_PGM_RSRC2:USER_SGPR: 2
; COMPUTE_PGM_RSRC2:TRAP_HANDLER: 0
; COMPUTE_PGM_RSRC2:TGID_X_EN: 1
; COMPUTE_PGM_RSRC2:TGID_Y_EN: 0
; COMPUTE_PGM_RSRC2:TGID_Z_EN: 0
; COMPUTE_PGM_RSRC2:TIDIG_COMP_CNT: 0
; COMPUTE_PGM_RSRC3_GFX90A:ACCUM_OFFSET: 16
; COMPUTE_PGM_RSRC3_GFX90A:TG_SPLIT: 0
	.text
	.p2alignl 6, 3212836864
	.fill 256, 4, 3212836864
	.type	__hip_cuid_c33e4f36fa15660b,@object ; @__hip_cuid_c33e4f36fa15660b
	.section	.bss,"aw",@nobits
	.globl	__hip_cuid_c33e4f36fa15660b
__hip_cuid_c33e4f36fa15660b:
	.byte	0                               ; 0x0
	.size	__hip_cuid_c33e4f36fa15660b, 1

	.ident	"AMD clang version 19.0.0git (https://github.com/RadeonOpenCompute/llvm-project roc-6.4.0 25133 c7fe45cf4b819c5991fe208aaa96edf142730f1d)"
	.section	".note.GNU-stack","",@progbits
	.addrsig
	.addrsig_sym __hip_cuid_c33e4f36fa15660b
	.amdgpu_metadata
---
amdhsa.kernels:
  - .agpr_count:     0
    .args:
      - .actual_access:  read_only
        .address_space:  global
        .offset:         0
        .size:           8
        .value_kind:     global_buffer
      - .offset:         8
        .size:           8
        .value_kind:     by_value
      - .actual_access:  read_only
        .address_space:  global
        .offset:         16
        .size:           8
        .value_kind:     global_buffer
      - .actual_access:  read_only
        .address_space:  global
        .offset:         24
        .size:           8
        .value_kind:     global_buffer
      - .offset:         32
        .size:           8
        .value_kind:     by_value
      - .actual_access:  read_only
        .address_space:  global
        .offset:         40
        .size:           8
        .value_kind:     global_buffer
      - .actual_access:  read_only
        .address_space:  global
        .offset:         48
        .size:           8
        .value_kind:     global_buffer
      - .offset:         56
        .size:           4
        .value_kind:     by_value
      - .actual_access:  read_only
        .address_space:  global
        .offset:         64
        .size:           8
        .value_kind:     global_buffer
      - .actual_access:  read_only
        .address_space:  global
        .offset:         72
        .size:           8
        .value_kind:     global_buffer
      - .address_space:  global
        .offset:         80
        .size:           8
        .value_kind:     global_buffer
    .group_segment_fixed_size: 0
    .kernarg_segment_align: 8
    .kernarg_segment_size: 88
    .language:       OpenCL C
    .language_version:
      - 2
      - 0
    .max_flat_workgroup_size: 81
    .name:           fft_rtc_back_len810_factors_3_10_3_3_3_wgs_81_tpt_81_halfLds_sp_ip_CI_unitstride_sbrr_dirReg
    .private_segment_fixed_size: 0
    .sgpr_count:     28
    .sgpr_spill_count: 0
    .symbol:         fft_rtc_back_len810_factors_3_10_3_3_3_wgs_81_tpt_81_halfLds_sp_ip_CI_unitstride_sbrr_dirReg.kd
    .uniform_work_group_size: 1
    .uses_dynamic_stack: false
    .vgpr_count:     68
    .vgpr_spill_count: 0
    .wavefront_size: 64
amdhsa.target:   amdgcn-amd-amdhsa--gfx950
amdhsa.version:
  - 1
  - 2
...

	.end_amdgpu_metadata
